;; amdgpu-corpus repo=ROCm/rocFFT kind=compiled arch=gfx1201 opt=O3
	.text
	.amdgcn_target "amdgcn-amd-amdhsa--gfx1201"
	.amdhsa_code_object_version 6
	.protected	fft_rtc_fwd_len1750_factors_2_5_5_7_5_wgs_175_tpt_175_halfLds_dp_ip_CI_sbrr_dirReg ; -- Begin function fft_rtc_fwd_len1750_factors_2_5_5_7_5_wgs_175_tpt_175_halfLds_dp_ip_CI_sbrr_dirReg
	.globl	fft_rtc_fwd_len1750_factors_2_5_5_7_5_wgs_175_tpt_175_halfLds_dp_ip_CI_sbrr_dirReg
	.p2align	8
	.type	fft_rtc_fwd_len1750_factors_2_5_5_7_5_wgs_175_tpt_175_halfLds_dp_ip_CI_sbrr_dirReg,@function
fft_rtc_fwd_len1750_factors_2_5_5_7_5_wgs_175_tpt_175_halfLds_dp_ip_CI_sbrr_dirReg: ; @fft_rtc_fwd_len1750_factors_2_5_5_7_5_wgs_175_tpt_175_halfLds_dp_ip_CI_sbrr_dirReg
; %bb.0:
	s_clause 0x2
	s_load_b64 s[12:13], s[0:1], 0x18
	s_load_b128 s[4:7], s[0:1], 0x0
	s_load_b64 s[10:11], s[0:1], 0x50
	v_mul_u32_u24_e32 v1, 0x177, v0
	v_mov_b32_e32 v3, 0
	s_delay_alu instid0(VALU_DEP_2) | instskip(NEXT) | instid1(VALU_DEP_1)
	v_lshrrev_b32_e32 v1, 16, v1
	v_add_nc_u32_e32 v5, ttmp9, v1
	v_mov_b32_e32 v1, 0
	v_mov_b32_e32 v2, 0
	;; [unrolled: 1-line block ×3, first 2 shown]
	s_wait_kmcnt 0x0
	s_load_b64 s[8:9], s[12:13], 0x0
	v_cmp_lt_u64_e64 s2, s[6:7], 2
	s_delay_alu instid0(VALU_DEP_1)
	s_and_b32 vcc_lo, exec_lo, s2
	s_cbranch_vccnz .LBB0_8
; %bb.1:
	s_load_b64 s[2:3], s[0:1], 0x10
	v_mov_b32_e32 v1, 0
	v_mov_b32_e32 v2, 0
	s_add_nc_u64 s[14:15], s[12:13], 8
	s_mov_b64 s[16:17], 1
	s_wait_kmcnt 0x0
	s_add_nc_u64 s[18:19], s[2:3], 8
	s_mov_b32 s3, 0
.LBB0_2:                                ; =>This Inner Loop Header: Depth=1
	s_load_b64 s[20:21], s[18:19], 0x0
                                        ; implicit-def: $vgpr7_vgpr8
	s_mov_b32 s2, exec_lo
	s_wait_kmcnt 0x0
	v_or_b32_e32 v4, s21, v6
	s_delay_alu instid0(VALU_DEP_1)
	v_cmpx_ne_u64_e32 0, v[3:4]
	s_wait_alu 0xfffe
	s_xor_b32 s22, exec_lo, s2
	s_cbranch_execz .LBB0_4
; %bb.3:                                ;   in Loop: Header=BB0_2 Depth=1
	s_cvt_f32_u32 s2, s20
	s_cvt_f32_u32 s23, s21
	s_sub_nc_u64 s[26:27], 0, s[20:21]
	s_wait_alu 0xfffe
	s_delay_alu instid0(SALU_CYCLE_1) | instskip(SKIP_1) | instid1(SALU_CYCLE_2)
	s_fmamk_f32 s2, s23, 0x4f800000, s2
	s_wait_alu 0xfffe
	v_s_rcp_f32 s2, s2
	s_delay_alu instid0(TRANS32_DEP_1) | instskip(SKIP_1) | instid1(SALU_CYCLE_2)
	s_mul_f32 s2, s2, 0x5f7ffffc
	s_wait_alu 0xfffe
	s_mul_f32 s23, s2, 0x2f800000
	s_wait_alu 0xfffe
	s_delay_alu instid0(SALU_CYCLE_2) | instskip(SKIP_1) | instid1(SALU_CYCLE_2)
	s_trunc_f32 s23, s23
	s_wait_alu 0xfffe
	s_fmamk_f32 s2, s23, 0xcf800000, s2
	s_cvt_u32_f32 s25, s23
	s_wait_alu 0xfffe
	s_delay_alu instid0(SALU_CYCLE_1) | instskip(SKIP_1) | instid1(SALU_CYCLE_2)
	s_cvt_u32_f32 s24, s2
	s_wait_alu 0xfffe
	s_mul_u64 s[28:29], s[26:27], s[24:25]
	s_wait_alu 0xfffe
	s_mul_hi_u32 s31, s24, s29
	s_mul_i32 s30, s24, s29
	s_mul_hi_u32 s2, s24, s28
	s_mul_i32 s33, s25, s28
	s_wait_alu 0xfffe
	s_add_nc_u64 s[30:31], s[2:3], s[30:31]
	s_mul_hi_u32 s23, s25, s28
	s_mul_hi_u32 s34, s25, s29
	s_add_co_u32 s2, s30, s33
	s_wait_alu 0xfffe
	s_add_co_ci_u32 s2, s31, s23
	s_mul_i32 s28, s25, s29
	s_add_co_ci_u32 s29, s34, 0
	s_wait_alu 0xfffe
	s_add_nc_u64 s[28:29], s[2:3], s[28:29]
	s_wait_alu 0xfffe
	v_add_co_u32 v4, s2, s24, s28
	s_delay_alu instid0(VALU_DEP_1) | instskip(SKIP_1) | instid1(VALU_DEP_1)
	s_cmp_lg_u32 s2, 0
	s_add_co_ci_u32 s25, s25, s29
	v_readfirstlane_b32 s24, v4
	s_wait_alu 0xfffe
	s_delay_alu instid0(VALU_DEP_1)
	s_mul_u64 s[26:27], s[26:27], s[24:25]
	s_wait_alu 0xfffe
	s_mul_hi_u32 s29, s24, s27
	s_mul_i32 s28, s24, s27
	s_mul_hi_u32 s2, s24, s26
	s_mul_i32 s30, s25, s26
	s_wait_alu 0xfffe
	s_add_nc_u64 s[28:29], s[2:3], s[28:29]
	s_mul_hi_u32 s23, s25, s26
	s_mul_hi_u32 s24, s25, s27
	s_wait_alu 0xfffe
	s_add_co_u32 s2, s28, s30
	s_add_co_ci_u32 s2, s29, s23
	s_mul_i32 s26, s25, s27
	s_add_co_ci_u32 s27, s24, 0
	s_wait_alu 0xfffe
	s_add_nc_u64 s[26:27], s[2:3], s[26:27]
	s_wait_alu 0xfffe
	v_add_co_u32 v4, s2, v4, s26
	s_delay_alu instid0(VALU_DEP_1) | instskip(SKIP_1) | instid1(VALU_DEP_1)
	s_cmp_lg_u32 s2, 0
	s_add_co_ci_u32 s2, s25, s27
	v_mul_hi_u32 v13, v5, v4
	s_wait_alu 0xfffe
	v_mad_co_u64_u32 v[7:8], null, v5, s2, 0
	v_mad_co_u64_u32 v[9:10], null, v6, v4, 0
	;; [unrolled: 1-line block ×3, first 2 shown]
	s_delay_alu instid0(VALU_DEP_3) | instskip(SKIP_1) | instid1(VALU_DEP_4)
	v_add_co_u32 v4, vcc_lo, v13, v7
	s_wait_alu 0xfffd
	v_add_co_ci_u32_e32 v7, vcc_lo, 0, v8, vcc_lo
	s_delay_alu instid0(VALU_DEP_2) | instskip(SKIP_1) | instid1(VALU_DEP_2)
	v_add_co_u32 v4, vcc_lo, v4, v9
	s_wait_alu 0xfffd
	v_add_co_ci_u32_e32 v4, vcc_lo, v7, v10, vcc_lo
	s_wait_alu 0xfffd
	v_add_co_ci_u32_e32 v7, vcc_lo, 0, v12, vcc_lo
	s_delay_alu instid0(VALU_DEP_2) | instskip(SKIP_1) | instid1(VALU_DEP_2)
	v_add_co_u32 v4, vcc_lo, v4, v11
	s_wait_alu 0xfffd
	v_add_co_ci_u32_e32 v9, vcc_lo, 0, v7, vcc_lo
	s_delay_alu instid0(VALU_DEP_2) | instskip(SKIP_1) | instid1(VALU_DEP_3)
	v_mul_lo_u32 v10, s21, v4
	v_mad_co_u64_u32 v[7:8], null, s20, v4, 0
	v_mul_lo_u32 v11, s20, v9
	s_delay_alu instid0(VALU_DEP_2) | instskip(NEXT) | instid1(VALU_DEP_2)
	v_sub_co_u32 v7, vcc_lo, v5, v7
	v_add3_u32 v8, v8, v11, v10
	s_delay_alu instid0(VALU_DEP_1) | instskip(SKIP_1) | instid1(VALU_DEP_1)
	v_sub_nc_u32_e32 v10, v6, v8
	s_wait_alu 0xfffd
	v_subrev_co_ci_u32_e64 v10, s2, s21, v10, vcc_lo
	v_add_co_u32 v11, s2, v4, 2
	s_wait_alu 0xf1ff
	v_add_co_ci_u32_e64 v12, s2, 0, v9, s2
	v_sub_co_u32 v13, s2, v7, s20
	v_sub_co_ci_u32_e32 v8, vcc_lo, v6, v8, vcc_lo
	s_wait_alu 0xf1ff
	v_subrev_co_ci_u32_e64 v10, s2, 0, v10, s2
	s_delay_alu instid0(VALU_DEP_3) | instskip(NEXT) | instid1(VALU_DEP_3)
	v_cmp_le_u32_e32 vcc_lo, s20, v13
	v_cmp_eq_u32_e64 s2, s21, v8
	s_wait_alu 0xfffd
	v_cndmask_b32_e64 v13, 0, -1, vcc_lo
	v_cmp_le_u32_e32 vcc_lo, s21, v10
	s_wait_alu 0xfffd
	v_cndmask_b32_e64 v14, 0, -1, vcc_lo
	v_cmp_le_u32_e32 vcc_lo, s20, v7
	;; [unrolled: 3-line block ×3, first 2 shown]
	s_wait_alu 0xfffd
	v_cndmask_b32_e64 v15, 0, -1, vcc_lo
	v_cmp_eq_u32_e32 vcc_lo, s21, v10
	s_wait_alu 0xf1ff
	s_delay_alu instid0(VALU_DEP_2)
	v_cndmask_b32_e64 v7, v15, v7, s2
	s_wait_alu 0xfffd
	v_cndmask_b32_e32 v10, v14, v13, vcc_lo
	v_add_co_u32 v13, vcc_lo, v4, 1
	s_wait_alu 0xfffd
	v_add_co_ci_u32_e32 v14, vcc_lo, 0, v9, vcc_lo
	s_delay_alu instid0(VALU_DEP_3) | instskip(SKIP_2) | instid1(VALU_DEP_3)
	v_cmp_ne_u32_e32 vcc_lo, 0, v10
	s_wait_alu 0xfffd
	v_cndmask_b32_e32 v10, v13, v11, vcc_lo
	v_cndmask_b32_e32 v8, v14, v12, vcc_lo
	v_cmp_ne_u32_e32 vcc_lo, 0, v7
	s_wait_alu 0xfffd
	s_delay_alu instid0(VALU_DEP_2)
	v_dual_cndmask_b32 v7, v4, v10 :: v_dual_cndmask_b32 v8, v9, v8
.LBB0_4:                                ;   in Loop: Header=BB0_2 Depth=1
	s_wait_alu 0xfffe
	s_and_not1_saveexec_b32 s2, s22
	s_cbranch_execz .LBB0_6
; %bb.5:                                ;   in Loop: Header=BB0_2 Depth=1
	v_cvt_f32_u32_e32 v4, s20
	s_sub_co_i32 s22, 0, s20
	s_delay_alu instid0(VALU_DEP_1) | instskip(NEXT) | instid1(TRANS32_DEP_1)
	v_rcp_iflag_f32_e32 v4, v4
	v_mul_f32_e32 v4, 0x4f7ffffe, v4
	s_delay_alu instid0(VALU_DEP_1) | instskip(SKIP_1) | instid1(VALU_DEP_1)
	v_cvt_u32_f32_e32 v4, v4
	s_wait_alu 0xfffe
	v_mul_lo_u32 v7, s22, v4
	s_delay_alu instid0(VALU_DEP_1) | instskip(NEXT) | instid1(VALU_DEP_1)
	v_mul_hi_u32 v7, v4, v7
	v_add_nc_u32_e32 v4, v4, v7
	s_delay_alu instid0(VALU_DEP_1) | instskip(NEXT) | instid1(VALU_DEP_1)
	v_mul_hi_u32 v4, v5, v4
	v_mul_lo_u32 v7, v4, s20
	v_add_nc_u32_e32 v8, 1, v4
	s_delay_alu instid0(VALU_DEP_2) | instskip(NEXT) | instid1(VALU_DEP_1)
	v_sub_nc_u32_e32 v7, v5, v7
	v_subrev_nc_u32_e32 v9, s20, v7
	v_cmp_le_u32_e32 vcc_lo, s20, v7
	s_wait_alu 0xfffd
	s_delay_alu instid0(VALU_DEP_2) | instskip(NEXT) | instid1(VALU_DEP_1)
	v_dual_cndmask_b32 v7, v7, v9 :: v_dual_cndmask_b32 v4, v4, v8
	v_cmp_le_u32_e32 vcc_lo, s20, v7
	s_delay_alu instid0(VALU_DEP_2) | instskip(SKIP_1) | instid1(VALU_DEP_1)
	v_add_nc_u32_e32 v8, 1, v4
	s_wait_alu 0xfffd
	v_dual_cndmask_b32 v7, v4, v8 :: v_dual_mov_b32 v8, v3
.LBB0_6:                                ;   in Loop: Header=BB0_2 Depth=1
	s_wait_alu 0xfffe
	s_or_b32 exec_lo, exec_lo, s2
	s_load_b64 s[22:23], s[14:15], 0x0
	s_delay_alu instid0(VALU_DEP_1)
	v_mul_lo_u32 v4, v8, s20
	v_mul_lo_u32 v11, v7, s21
	v_mad_co_u64_u32 v[9:10], null, v7, s20, 0
	s_add_nc_u64 s[16:17], s[16:17], 1
	s_add_nc_u64 s[14:15], s[14:15], 8
	s_wait_alu 0xfffe
	v_cmp_ge_u64_e64 s2, s[16:17], s[6:7]
	s_add_nc_u64 s[18:19], s[18:19], 8
	s_delay_alu instid0(VALU_DEP_2) | instskip(NEXT) | instid1(VALU_DEP_3)
	v_add3_u32 v4, v10, v11, v4
	v_sub_co_u32 v5, vcc_lo, v5, v9
	s_wait_alu 0xfffd
	s_delay_alu instid0(VALU_DEP_2) | instskip(SKIP_3) | instid1(VALU_DEP_2)
	v_sub_co_ci_u32_e32 v4, vcc_lo, v6, v4, vcc_lo
	s_and_b32 vcc_lo, exec_lo, s2
	s_wait_kmcnt 0x0
	v_mul_lo_u32 v6, s23, v5
	v_mul_lo_u32 v4, s22, v4
	v_mad_co_u64_u32 v[1:2], null, s22, v5, v[1:2]
	s_delay_alu instid0(VALU_DEP_1)
	v_add3_u32 v2, v6, v2, v4
	s_wait_alu 0xfffe
	s_cbranch_vccnz .LBB0_9
; %bb.7:                                ;   in Loop: Header=BB0_2 Depth=1
	v_dual_mov_b32 v5, v7 :: v_dual_mov_b32 v6, v8
	s_branch .LBB0_2
.LBB0_8:
	v_dual_mov_b32 v8, v6 :: v_dual_mov_b32 v7, v5
.LBB0_9:
	s_lshl_b64 s[2:3], s[6:7], 3
	v_mul_hi_u32 v3, 0x1767dcf, v0
	s_wait_alu 0xfffe
	s_add_nc_u64 s[2:3], s[12:13], s[2:3]
	s_load_b64 s[0:1], s[0:1], 0x20
	s_load_b64 s[2:3], s[2:3], 0x0
                                        ; implicit-def: $vgpr76
                                        ; implicit-def: $vgpr41
                                        ; implicit-def: $vgpr40
	s_delay_alu instid0(VALU_DEP_1) | instskip(NEXT) | instid1(VALU_DEP_1)
	v_mul_u32_u24_e32 v3, 0xaf, v3
	v_sub_nc_u32_e32 v70, v0, v3
	s_delay_alu instid0(VALU_DEP_1)
	v_add_nc_u32_e32 v71, 0xaf, v70
	v_add_nc_u32_e32 v72, 0x15e, v70
	;; [unrolled: 1-line block ×3, first 2 shown]
	s_wait_kmcnt 0x0
	v_cmp_gt_u64_e32 vcc_lo, s[0:1], v[7:8]
	v_mul_lo_u32 v3, s2, v8
	v_mul_lo_u32 v4, s3, v7
	v_mad_co_u64_u32 v[0:1], null, s2, v7, v[1:2]
	v_cmp_le_u64_e64 s0, s[0:1], v[7:8]
	s_delay_alu instid0(VALU_DEP_2) | instskip(NEXT) | instid1(VALU_DEP_2)
	v_add3_u32 v1, v4, v1, v3
	s_and_saveexec_b32 s1, s0
	s_wait_alu 0xfffe
	s_xor_b32 s0, exec_lo, s1
; %bb.10:
	v_add_nc_u32_e32 v76, 0xaf, v70
	v_add_nc_u32_e32 v41, 0x15e, v70
	;; [unrolled: 1-line block ×3, first 2 shown]
; %bb.11:
	s_wait_alu 0xfffe
	s_or_saveexec_b32 s1, s0
	v_lshlrev_b64_e32 v[48:49], 4, v[0:1]
	v_add_nc_u32_e32 v74, 0x41a, v70
	v_add_nc_u32_e32 v75, 0x578, v70
                                        ; implicit-def: $vgpr30_vgpr31
                                        ; implicit-def: $vgpr18_vgpr19
                                        ; implicit-def: $vgpr34_vgpr35
                                        ; implicit-def: $vgpr22_vgpr23
                                        ; implicit-def: $vgpr38_vgpr39
                                        ; implicit-def: $vgpr26_vgpr27
                                        ; implicit-def: $vgpr14_vgpr15
                                        ; implicit-def: $vgpr6_vgpr7
                                        ; implicit-def: $vgpr10_vgpr11
                                        ; implicit-def: $vgpr2_vgpr3
	s_wait_alu 0xfffe
	s_xor_b32 exec_lo, exec_lo, s1
	s_cbranch_execz .LBB0_13
; %bb.12:
	v_add_nc_u32_e32 v7, 0x36b, v70
	v_mad_co_u64_u32 v[0:1], null, s8, v70, 0
	v_mad_co_u64_u32 v[12:13], null, s8, v74, 0
	s_delay_alu instid0(VALU_DEP_3) | instskip(SKIP_4) | instid1(VALU_DEP_4)
	v_mad_co_u64_u32 v[2:3], null, s8, v7, 0
	v_add_co_u32 v32, s0, s10, v48
	s_wait_alu 0xf1ff
	v_add_co_ci_u32_e64 v33, s0, s11, v49, s0
	v_mad_co_u64_u32 v[16:17], null, s8, v72, 0
	v_mad_co_u64_u32 v[4:5], null, s9, v70, v[1:2]
	v_mov_b32_e32 v1, v3
	v_mad_co_u64_u32 v[5:6], null, s8, v71, 0
	v_dual_mov_b32 v76, v71 :: v_dual_add_nc_u32 v25, 0x20d, v70
	s_delay_alu instid0(VALU_DEP_3) | instskip(SKIP_1) | instid1(VALU_DEP_4)
	v_mad_co_u64_u32 v[7:8], null, s9, v7, v[1:2]
	v_dual_mov_b32 v1, v4 :: v_dual_add_nc_u32 v30, 0x627, v70
	v_mov_b32_e32 v4, v6
	v_mov_b32_e32 v6, v13
	v_mad_co_u64_u32 v[20:21], null, s8, v25, 0
	v_mov_b32_e32 v3, v7
	s_delay_alu instid0(VALU_DEP_4) | instskip(NEXT) | instid1(VALU_DEP_1)
	v_mad_co_u64_u32 v[7:8], null, s9, v71, v[4:5]
	v_mad_co_u64_u32 v[13:14], null, s9, v74, v[6:7]
	v_add_nc_u32_e32 v14, 0x4c9, v70
	v_mov_b32_e32 v6, v7
	v_lshlrev_b64_e32 v[0:1], 4, v[0:1]
	v_lshlrev_b64_e32 v[2:3], 4, v[2:3]
	s_delay_alu instid0(VALU_DEP_4) | instskip(NEXT) | instid1(VALU_DEP_4)
	v_mad_co_u64_u32 v[18:19], null, s8, v14, 0
	v_lshlrev_b64_e32 v[4:5], 4, v[5:6]
	s_delay_alu instid0(VALU_DEP_4)
	v_add_co_u32 v0, s0, v32, v0
	s_wait_alu 0xf1ff
	v_add_co_ci_u32_e64 v1, s0, v33, v1, s0
	v_add_co_u32 v8, s0, v32, v2
	s_wait_alu 0xf1ff
	v_add_co_ci_u32_e64 v9, s0, v33, v3, s0
	s_clause 0x1
	global_load_b128 v[0:3], v[0:1], off
	global_load_b128 v[8:11], v[8:9], off
	v_mov_b32_e32 v6, v17
	v_lshlrev_b64_e32 v[12:13], 4, v[12:13]
	v_add_co_u32 v4, s0, v32, v4
	s_wait_alu 0xf1ff
	v_add_co_ci_u32_e64 v5, s0, v33, v5, s0
	v_mad_co_u64_u32 v[6:7], null, s9, v72, v[6:7]
	v_mov_b32_e32 v7, v19
	v_add_co_u32 v12, s0, v32, v12
	s_wait_alu 0xf1ff
	v_add_co_ci_u32_e64 v13, s0, v33, v13, s0
	s_delay_alu instid0(VALU_DEP_4) | instskip(NEXT) | instid1(VALU_DEP_1)
	v_mov_b32_e32 v17, v6
	v_lshlrev_b64_e32 v[16:17], 4, v[16:17]
	s_delay_alu instid0(VALU_DEP_1) | instskip(SKIP_1) | instid1(VALU_DEP_2)
	v_add_co_u32 v16, s0, v32, v16
	s_wait_alu 0xf1ff
	v_add_co_ci_u32_e64 v17, s0, v33, v17, s0
	s_wait_loadcnt 0x0
	v_mad_co_u64_u32 v[22:23], null, s9, v14, v[7:8]
	v_mad_co_u64_u32 v[23:24], null, s8, v75, 0
	s_clause 0x1
	global_load_b128 v[4:7], v[4:5], off
	global_load_b128 v[12:15], v[12:13], off
	v_mov_b32_e32 v19, v22
	v_mad_co_u64_u32 v[21:22], null, s9, v25, v[21:22]
	v_mov_b32_e32 v22, v24
	v_mad_co_u64_u32 v[25:26], null, s8, v73, 0
	s_delay_alu instid0(VALU_DEP_2) | instskip(SKIP_1) | instid1(VALU_DEP_3)
	v_mad_co_u64_u32 v[27:28], null, s9, v75, v[22:23]
	v_mad_co_u64_u32 v[28:29], null, s8, v30, 0
	v_mov_b32_e32 v22, v26
	v_lshlrev_b64_e32 v[18:19], 4, v[18:19]
	v_lshlrev_b64_e32 v[20:21], 4, v[20:21]
	v_mov_b32_e32 v24, v27
	s_delay_alu instid0(VALU_DEP_4) | instskip(SKIP_4) | instid1(VALU_DEP_3)
	v_mad_co_u64_u32 v[26:27], null, s9, v73, v[22:23]
	v_mov_b32_e32 v22, v29
	v_add_co_u32 v18, s0, v32, v18
	s_wait_alu 0xf1ff
	v_add_co_ci_u32_e64 v19, s0, v33, v19, s0
	v_mad_co_u64_u32 v[29:30], null, s9, v30, v[22:23]
	v_lshlrev_b64_e32 v[22:23], 4, v[23:24]
	v_add_co_u32 v20, s0, v32, v20
	s_wait_alu 0xf1ff
	v_add_co_ci_u32_e64 v21, s0, v33, v21, s0
	v_lshlrev_b64_e32 v[24:25], 4, v[25:26]
	s_delay_alu instid0(VALU_DEP_4) | instskip(SKIP_3) | instid1(VALU_DEP_4)
	v_add_co_u32 v30, s0, v32, v22
	s_wait_alu 0xf1ff
	v_add_co_ci_u32_e64 v31, s0, v33, v23, s0
	v_lshlrev_b64_e32 v[22:23], 4, v[28:29]
	v_add_co_u32 v28, s0, v32, v24
	s_wait_alu 0xf1ff
	v_add_co_ci_u32_e64 v29, s0, v33, v25, s0
	s_delay_alu instid0(VALU_DEP_3)
	v_add_co_u32 v40, s0, v32, v22
	s_wait_alu 0xf1ff
	v_add_co_ci_u32_e64 v41, s0, v33, v23, s0
	s_clause 0x5
	global_load_b128 v[24:27], v[16:17], off
	global_load_b128 v[36:39], v[18:19], off
	;; [unrolled: 1-line block ×6, first 2 shown]
	v_dual_mov_b32 v41, v72 :: v_dual_mov_b32 v40, v73
.LBB0_13:
	s_or_b32 exec_lo, exec_lo, s1
	v_add_f64_e64 v[44:45], v[0:1], -v[8:9]
	v_add_f64_e64 v[60:61], v[2:3], -v[10:11]
	s_wait_loadcnt 0x6
	v_add_f64_e64 v[52:53], v[4:5], -v[12:13]
	v_add_f64_e64 v[14:15], v[6:7], -v[14:15]
	s_wait_loadcnt 0x4
	v_add_f64_e64 v[36:37], v[24:25], -v[36:37]
	s_wait_loadcnt 0x0
	v_add_f64_e64 v[56:57], v[16:17], -v[28:29]
	v_add_f64_e64 v[28:29], v[26:27], -v[38:39]
	;; [unrolled: 1-line block ×5, first 2 shown]
	v_lshlrev_b32_e32 v8, 3, v70
	v_lshl_add_u32 v78, v40, 4, 0
	v_lshlrev_b32_e32 v80, 3, v40
	v_and_b32_e32 v11, 1, v76
	v_lshl_add_u32 v77, v41, 4, 0
	v_lshlrev_b32_e32 v79, 3, v41
	s_mov_b32 s2, 0x134454ff
	v_sub_nc_u32_e32 v10, v78, v80
	v_lshlrev_b32_e32 v93, 6, v11
	s_mov_b32 s3, 0x3fee6f0e
	v_sub_nc_u32_e32 v9, v77, v79
	s_mov_b32 s7, 0xbfee6f0e
	s_wait_alu 0xfffe
	s_mov_b32 s6, s2
	s_mov_b32 s12, 0x4755a5e
	;; [unrolled: 1-line block ×7, first 2 shown]
	v_cmp_gt_u32_e64 s0, 0x4b, v70
	v_fma_f64 v[42:43], v[0:1], 2.0, -v[44:45]
	v_fma_f64 v[58:59], v[2:3], 2.0, -v[60:61]
	;; [unrolled: 1-line block ×10, first 2 shown]
	v_lshl_add_u32 v4, v70, 4, 0
	v_and_b32_e32 v0, 1, v70
	v_lshl_add_u32 v5, v76, 4, 0
	v_lshlrev_b32_e32 v6, 3, v76
	ds_store_b128 v4, v[42:45]
	ds_store_b128 v5, v[50:53]
	;; [unrolled: 1-line block ×3, first 2 shown]
	ds_store_b128 v4, v[30:33] offset:8400
	ds_store_b128 v78, v[54:57]
	v_sub_nc_u32_e32 v7, v4, v8
	v_lshlrev_b32_e32 v38, 6, v0
	v_sub_nc_u32_e32 v1, v5, v6
	global_wb scope:SCOPE_SE
	s_wait_dscnt 0x0
	s_barrier_signal -1
	v_add_nc_u32_e32 v2, 0x1a00, v7
	v_add_nc_u32_e32 v3, 0x2400, v7
	s_barrier_wait -1
	global_inv scope:SCOPE_SE
	ds_load_2addr_b64 v[16:19], v2 offset0:43 offset1:218
	ds_load_2addr_b64 v[20:23], v3 offset0:73 offset1:248
	ds_load_b64 v[81:82], v10
	ds_load_b64 v[83:84], v1
	;; [unrolled: 1-line block ×3, first 2 shown]
	ds_load_b64 v[87:88], v7 offset:4200
	ds_load_b64 v[89:90], v9
	ds_load_b64 v[91:92], v7 offset:12600
	global_wb scope:SCOPE_SE
	s_wait_dscnt 0x0
	s_barrier_signal -1
	s_barrier_wait -1
	global_inv scope:SCOPE_SE
	ds_store_b128 v4, v[58:61]
	ds_store_b128 v5, v[12:15]
	;; [unrolled: 1-line block ×3, first 2 shown]
	ds_store_b128 v4, v[62:65] offset:8400
	ds_store_b128 v78, v[66:69]
	global_wb scope:SCOPE_SE
	s_wait_dscnt 0x0
	s_barrier_signal -1
	s_barrier_wait -1
	global_inv scope:SCOPE_SE
	s_clause 0x7
	global_load_b128 v[12:15], v38, s[4:5]
	global_load_b128 v[24:27], v38, s[4:5] offset:16
	global_load_b128 v[28:31], v38, s[4:5] offset:32
	;; [unrolled: 1-line block ×4, first 2 shown]
	global_load_b128 v[40:43], v93, s[4:5]
	global_load_b128 v[44:47], v93, s[4:5] offset:32
	global_load_b128 v[50:53], v93, s[4:5] offset:48
	ds_load_b64 v[62:63], v9
	ds_load_b64 v[64:65], v10
	ds_load_2addr_b64 v[54:57], v2 offset0:43 offset1:218
	ds_load_2addr_b64 v[58:61], v3 offset0:73 offset1:248
	ds_load_b64 v[66:67], v7 offset:4200
	ds_load_b64 v[68:69], v7 offset:12600
	ds_load_b64 v[93:94], v1
	ds_load_b64 v[95:96], v7
	global_wb scope:SCOPE_SE
	s_wait_loadcnt_dscnt 0x0
	s_barrier_signal -1
	s_barrier_wait -1
	global_inv scope:SCOPE_SE
	v_sub_nc_u32_e32 v6, 0, v6
	v_mul_f64_e32 v[97:98], v[62:63], v[14:15]
	v_mul_f64_e32 v[99:100], v[64:65], v[26:27]
	;; [unrolled: 1-line block ×16, first 2 shown]
	v_fma_f64 v[89:90], v[89:90], v[12:13], -v[97:98]
	v_fma_f64 v[81:82], v[81:82], v[24:25], -v[99:100]
	;; [unrolled: 1-line block ×8, first 2 shown]
	v_fma_f64 v[12:13], v[62:63], v[12:13], v[14:15]
	v_fma_f64 v[14:15], v[64:65], v[24:25], v[26:27]
	;; [unrolled: 1-line block ×8, first 2 shown]
	v_add_f64_e32 v[54:55], v[85:86], v[89:90]
	v_add_f64_e32 v[36:37], v[81:82], v[18:19]
	;; [unrolled: 1-line block ×3, first 2 shown]
	v_add_f64_e64 v[99:100], v[22:23], -v[18:19]
	v_add_f64_e32 v[56:57], v[83:84], v[87:88]
	v_add_f64_e32 v[40:41], v[16:17], v[20:21]
	;; [unrolled: 1-line block ×4, first 2 shown]
	v_add_f64_e64 v[97:98], v[87:88], -v[91:92]
	v_add_f64_e32 v[44:45], v[14:15], v[24:25]
	v_add_f64_e32 v[46:47], v[12:13], v[26:27]
	v_add_f64_e64 v[58:59], v[12:13], -v[26:27]
	v_add_f64_e32 v[50:51], v[30:31], v[32:33]
	v_add_f64_e64 v[60:61], v[14:15], -v[24:25]
	;; [unrolled: 2-line block ×3, first 2 shown]
	v_add_f64_e64 v[64:65], v[30:31], -v[32:33]
	v_add_f64_e32 v[68:69], v[93:94], v[28:29]
	v_add_f64_e64 v[101:102], v[18:19], -v[22:23]
	v_add_f64_e64 v[103:104], v[87:88], -v[16:17]
	v_add_f64_e64 v[105:106], v[91:92], -v[20:21]
	v_add_f64_e64 v[87:88], v[16:17], -v[87:88]
	v_add_f64_e64 v[107:108], v[20:21], -v[91:92]
	v_add_f64_e64 v[113:114], v[12:13], -v[14:15]
	v_add_f64_e64 v[115:116], v[26:27], -v[24:25]
	v_add_f64_e64 v[12:13], v[14:15], -v[12:13]
	v_add_f64_e64 v[119:120], v[28:29], -v[30:31]
	v_add_f64_e64 v[28:29], v[30:31], -v[28:29]
	v_add_f64_e64 v[117:118], v[24:25], -v[26:27]
	v_add_f64_e64 v[121:122], v[34:35], -v[32:33]
	v_add_f64_e64 v[123:124], v[32:33], -v[34:35]
	v_add_f64_e32 v[54:55], v[54:55], v[81:82]
	v_fma_f64 v[36:37], v[36:37], -0.5, v[85:86]
	v_fma_f64 v[38:39], v[38:39], -0.5, v[85:86]
	v_add_f64_e64 v[85:86], v[81:82], -v[18:19]
	v_fma_f64 v[40:41], v[40:41], -0.5, v[83:84]
	v_fma_f64 v[42:43], v[42:43], -0.5, v[83:84]
	v_add_f64_e64 v[83:84], v[89:90], -v[22:23]
	v_add_f64_e32 v[14:15], v[66:67], v[14:15]
	v_fma_f64 v[44:45], v[44:45], -0.5, v[95:96]
	v_fma_f64 v[46:47], v[46:47], -0.5, v[95:96]
	v_add_f64_e64 v[95:96], v[16:17], -v[20:21]
	v_fma_f64 v[50:51], v[50:51], -0.5, v[93:94]
	v_add_f64_e32 v[16:17], v[56:57], v[16:17]
	v_fma_f64 v[52:53], v[52:53], -0.5, v[93:94]
	v_add_f64_e64 v[93:94], v[89:90], -v[81:82]
	v_add_f64_e64 v[89:90], v[81:82], -v[89:90]
	v_add_f64_e32 v[30:31], v[68:69], v[30:31]
	v_lshrrev_b32_e32 v69, 1, v76
	v_and_b32_e32 v66, 0xff, v70
	v_add_f64_e32 v[87:88], v[87:88], v[107:108]
	s_delay_alu instid0(VALU_DEP_3)
	v_mul_lo_u32 v69, v69, 10
	v_add_f64_e32 v[12:13], v[12:13], v[117:118]
	v_add_f64_e32 v[28:29], v[28:29], v[123:124]
	v_add_f64_e32 v[18:19], v[54:55], v[18:19]
	v_fma_f64 v[56:57], v[58:59], s[2:3], v[36:37]
	s_wait_alu 0xfffe
	v_fma_f64 v[36:37], v[58:59], s[6:7], v[36:37]
	v_fma_f64 v[81:82], v[60:61], s[6:7], v[38:39]
	;; [unrolled: 1-line block ×15, first 2 shown]
	v_add_f64_e32 v[93:94], v[93:94], v[99:100]
	v_add_f64_e32 v[89:90], v[89:90], v[101:102]
	;; [unrolled: 1-line block ×7, first 2 shown]
	v_fma_f64 v[20:21], v[60:61], s[12:13], v[56:57]
	v_fma_f64 v[36:37], v[60:61], s[14:15], v[36:37]
	;; [unrolled: 1-line block ×6, first 2 shown]
	v_add_f64_e32 v[60:61], v[113:114], v[115:116]
	v_fma_f64 v[42:43], v[62:63], s[14:15], v[42:43]
	v_fma_f64 v[30:31], v[85:86], s[14:15], v[67:68]
	;; [unrolled: 1-line block ×6, first 2 shown]
	v_add_f64_e32 v[62:63], v[119:120], v[121:122]
	v_fma_f64 v[64:65], v[95:96], s[14:15], v[127:128]
	v_fma_f64 v[67:68], v[97:98], s[14:15], v[129:130]
	;; [unrolled: 1-line block ×4, first 2 shown]
	v_lshrrev_b32_e32 v83, 1, v70
	v_add_f64_e32 v[16:17], v[16:17], v[91:92]
	v_add_f64_e32 v[26:27], v[14:15], v[26:27]
	;; [unrolled: 1-line block ×3, first 2 shown]
	v_and_b32_e32 v81, 0xffff, v76
	v_mul_lo_u16 v82, 0xcd, v66
	s_delay_alu instid0(VALU_DEP_2) | instskip(NEXT) | instid1(VALU_DEP_2)
	v_mul_u32_u24_e32 v81, 0xcccd, v81
	v_lshrrev_b16 v115, 11, v82
	s_delay_alu instid0(VALU_DEP_2) | instskip(NEXT) | instid1(VALU_DEP_1)
	v_lshrrev_b32_e32 v116, 19, v81
	v_mul_lo_u16 v81, v116, 10
	v_fma_f64 v[20:21], v[93:94], s[16:17], v[20:21]
	v_fma_f64 v[22:23], v[93:94], s[16:17], v[36:37]
	;; [unrolled: 1-line block ×6, first 2 shown]
	v_mul_u32_u24_e32 v59, 10, v83
	v_fma_f64 v[42:43], v[87:88], s[16:17], v[42:43]
	v_fma_f64 v[30:31], v[60:61], s[16:17], v[30:31]
	v_fma_f64 v[32:33], v[60:61], s[16:17], v[32:33]
	v_fma_f64 v[34:35], v[12:13], s[16:17], v[44:45]
	v_or_b32_e32 v0, v59, v0
	v_or_b32_e32 v59, v69, v11
	v_fma_f64 v[11:12], v[12:13], s[16:17], v[46:47]
	v_fma_f64 v[44:45], v[62:63], s[16:17], v[64:65]
	;; [unrolled: 1-line block ×6, first 2 shown]
	v_mul_lo_u16 v58, v115, 10
	v_sub_nc_u16 v69, v76, v81
	v_lshl_add_u32 v0, v0, 3, 0
	v_lshl_add_u32 v13, v59, 3, 0
	ds_store_2addr_b64 v0, v[18:19], v[20:21] offset1:2
	ds_store_2addr_b64 v0, v[36:37], v[38:39] offset0:4 offset1:6
	ds_store_b64 v0, v[22:23] offset:64
	ds_store_2addr_b64 v13, v[16:17], v[54:55] offset1:2
	ds_store_2addr_b64 v13, v[56:57], v[42:43] offset0:4 offset1:6
	ds_store_b64 v13, v[40:41] offset:64
	v_sub_nc_u16 v58, v70, v58
	v_and_b32_e32 v69, 0xffff, v69
	global_wb scope:SCOPE_SE
	s_wait_dscnt 0x0
	s_barrier_signal -1
	s_barrier_wait -1
	v_and_b32_e32 v117, 0xff, v58
	v_lshlrev_b32_e32 v60, 6, v69
	global_inv scope:SCOPE_SE
	ds_load_2addr_b64 v[14:17], v2 offset0:43 offset1:218
	ds_load_2addr_b64 v[18:21], v3 offset0:73 offset1:248
	ds_load_b64 v[22:23], v10
	ds_load_b64 v[67:68], v1
	;; [unrolled: 1-line block ×3, first 2 shown]
	ds_load_b64 v[42:43], v7 offset:4200
	ds_load_b64 v[58:59], v9
	ds_load_b64 v[62:63], v7 offset:12600
	global_wb scope:SCOPE_SE
	s_wait_dscnt 0x0
	v_lshlrev_b32_e32 v52, 6, v117
	s_barrier_signal -1
	s_barrier_wait -1
	global_inv scope:SCOPE_SE
	ds_store_2addr_b64 v0, v[26:27], v[30:31] offset1:2
	ds_store_2addr_b64 v0, v[34:35], v[11:12] offset0:4 offset1:6
	ds_store_b64 v0, v[32:33] offset:64
	ds_store_2addr_b64 v13, v[24:25], v[44:45] offset1:2
	ds_store_2addr_b64 v13, v[46:47], v[28:29] offset0:4 offset1:6
	ds_store_b64 v13, v[50:51] offset:64
	global_wb scope:SCOPE_SE
	s_wait_dscnt 0x0
	s_barrier_signal -1
	s_barrier_wait -1
	global_inv scope:SCOPE_SE
	s_clause 0x7
	global_load_b128 v[26:29], v52, s[4:5] offset:128
	global_load_b128 v[30:33], v52, s[4:5] offset:144
	;; [unrolled: 1-line block ×8, first 2 shown]
	ds_load_b64 v[99:100], v9
	ds_load_b64 v[9:10], v10
	ds_load_2addr_b64 v[89:92], v2 offset0:43 offset1:218
	ds_load_2addr_b64 v[93:96], v3 offset0:73 offset1:248
	ds_load_b64 v[2:3], v7 offset:4200
	ds_load_b64 v[101:102], v7 offset:12600
	ds_load_b64 v[12:13], v1
	ds_load_b64 v[24:25], v7
	v_lshlrev_b32_e32 v11, 3, v117
	global_wb scope:SCOPE_SE
	s_wait_loadcnt_dscnt 0x0
	s_barrier_signal -1
	s_barrier_wait -1
	global_inv scope:SCOPE_SE
	v_mul_f64_e32 v[0:1], v[99:100], v[28:29]
	v_mul_f64_e32 v[44:45], v[9:10], v[32:33]
	v_mul_f64_e32 v[46:47], v[91:92], v[36:37]
	v_mul_f64_e32 v[60:61], v[89:90], v[40:41]
	v_mul_f64_e32 v[64:65], v[95:96], v[52:53]
	v_mul_f64_e32 v[103:104], v[93:94], v[56:57]
	v_mul_f64_e32 v[105:106], v[2:3], v[83:84]
	v_mul_f64_e32 v[107:108], v[101:102], v[87:88]
	v_mul_f64_e32 v[28:29], v[58:59], v[28:29]
	v_mul_f64_e32 v[111:112], v[14:15], v[40:41]
	v_mul_f64_e32 v[40:41], v[20:21], v[52:53]
	v_mul_f64_e32 v[113:114], v[18:19], v[56:57]
	v_mul_f64_e32 v[32:33], v[22:23], v[32:33]
	v_mul_f64_e32 v[109:110], v[16:17], v[36:37]
	v_mul_f64_e32 v[83:84], v[42:43], v[83:84]
	v_mul_f64_e32 v[87:88], v[62:63], v[87:88]
	v_fma_f64 v[52:53], v[58:59], v[26:27], -v[0:1]
	v_fma_f64 v[56:57], v[22:23], v[30:31], -v[44:45]
	;; [unrolled: 1-line block ×8, first 2 shown]
	v_fma_f64 v[42:43], v[99:100], v[26:27], v[28:29]
	v_fma_f64 v[38:39], v[89:90], v[38:39], v[111:112]
	;; [unrolled: 1-line block ×8, first 2 shown]
	v_add_f64_e32 v[18:19], v[97:98], v[52:53]
	v_add_f64_e64 v[54:55], v[52:53], -v[56:57]
	v_add_f64_e32 v[0:1], v[56:57], v[58:59]
	v_add_f64_e64 v[81:82], v[56:57], -v[52:53]
	v_add_f64_e32 v[2:3], v[52:53], v[64:65]
	v_add_f64_e32 v[9:10], v[44:45], v[46:47]
	;; [unrolled: 1-line block ×4, first 2 shown]
	v_add_f64_e64 v[83:84], v[58:59], -v[64:65]
	v_add_f64_e64 v[85:86], v[60:61], -v[44:45]
	;; [unrolled: 1-line block ×9, first 2 shown]
	v_add_f64_e32 v[18:19], v[18:19], v[56:57]
	v_fma_f64 v[0:1], v[0:1], -0.5, v[97:98]
	v_fma_f64 v[2:3], v[2:3], -0.5, v[97:98]
	;; [unrolled: 1-line block ×3, first 2 shown]
	v_add_f64_e32 v[32:33], v[32:33], v[44:45]
	v_fma_f64 v[16:17], v[16:17], -0.5, v[67:68]
	v_add_f64_e64 v[67:68], v[64:65], -v[58:59]
	v_add_f64_e32 v[18:19], v[18:19], v[58:59]
	v_fma_f64 v[93:94], v[28:29], s[2:3], v[0:1]
	v_fma_f64 v[0:1], v[28:29], s[6:7], v[0:1]
	;; [unrolled: 1-line block ×8, first 2 shown]
	v_add_f64_e32 v[54:55], v[54:55], v[67:68]
	v_add_f64_e32 v[67:68], v[81:82], v[83:84]
	;; [unrolled: 1-line block ×6, first 2 shown]
	v_fma_f64 v[85:86], v[30:31], s[12:13], v[93:94]
	v_fma_f64 v[0:1], v[30:31], s[14:15], v[0:1]
	;; [unrolled: 1-line block ×8, first 2 shown]
	v_add_f64_e32 v[32:33], v[32:33], v[62:63]
	v_fma_f64 v[34:35], v[54:55], s[16:17], v[85:86]
	v_fma_f64 v[54:55], v[54:55], s[16:17], v[0:1]
	;; [unrolled: 1-line block ×8, first 2 shown]
	v_and_b32_e32 v9, 0xffff, v115
	v_mul_u32_u24_e32 v10, 0x190, v116
	v_lshlrev_b32_e32 v16, 3, v69
	v_add_nc_u32_e32 v69, 0xf80, v7
	v_add_nc_u32_e32 v81, 0x1f40, v7
	v_mul_u32_u24_e32 v9, 0x190, v9
	s_delay_alu instid0(VALU_DEP_4) | instskip(NEXT) | instid1(VALU_DEP_2)
	v_add3_u32 v67, 0, v10, v16
	v_add3_u32 v68, 0, v9, v11
	ds_store_2addr_b64 v68, v[18:19], v[34:35] offset1:10
	ds_store_2addr_b64 v68, v[30:31], v[85:86] offset0:20 offset1:30
	ds_store_b64 v68, v[54:55] offset:320
	ds_store_2addr_b64 v67, v[32:33], v[28:29] offset1:10
	ds_store_2addr_b64 v67, v[50:51], v[0:1] offset0:20 offset1:30
	ds_store_b64 v67, v[2:3] offset:320
	global_wb scope:SCOPE_SE
	s_wait_dscnt 0x0
	s_barrier_signal -1
	s_barrier_wait -1
	global_inv scope:SCOPE_SE
	ds_load_2addr_b64 v[16:19], v7 offset1:250
	ds_load_2addr_b64 v[28:31], v69 offset0:4 offset1:254
	ds_load_2addr_b64 v[32:35], v81 offset1:250
	ds_load_b64 v[54:55], v7 offset:12000
	v_sub_nc_u32_e32 v7, 0, v8
	v_add_nc_u32_e32 v81, v5, v6
                                        ; implicit-def: $vgpr10_vgpr11
	s_delay_alu instid0(VALU_DEP_2)
	v_add_nc_u32_e32 v82, v4, v7
                                        ; implicit-def: $vgpr6_vgpr7
	s_and_saveexec_b32 s1, s0
	s_cbranch_execz .LBB0_15
; %bb.14:
	s_delay_alu instid0(VALU_DEP_1)
	v_add_nc_u32_e32 v0, 0xd40, v82
	v_add_nc_u32_e32 v4, 0x1cc0, v82
	;; [unrolled: 1-line block ×3, first 2 shown]
	ds_load_b64 v[50:51], v81
	ds_load_2addr_b64 v[0:3], v0 offset0:1 offset1:251
	ds_load_2addr_b64 v[8:11], v4 offset0:5 offset1:255
	;; [unrolled: 1-line block ×3, first 2 shown]
.LBB0_15:
	s_wait_alu 0xfffe
	s_or_b32 exec_lo, exec_lo, s1
	v_add_f64_e32 v[83:84], v[36:37], v[22:23]
	v_add_f64_e32 v[85:86], v[42:43], v[14:15]
	;; [unrolled: 1-line block ×5, first 2 shown]
	v_add_f64_e64 v[52:53], v[52:53], -v[64:65]
	v_add_f64_e64 v[56:57], v[56:57], -v[58:59]
	v_add_f64_e32 v[58:59], v[12:13], v[40:41]
	v_add_f64_e64 v[60:61], v[60:61], -v[62:63]
	v_add_f64_e64 v[44:45], v[44:45], -v[46:47]
	;; [unrolled: 1-line block ×5, first 2 shown]
	global_wb scope:SCOPE_SE
	s_wait_dscnt 0x0
	s_barrier_signal -1
	s_barrier_wait -1
	global_inv scope:SCOPE_SE
	v_fma_f64 v[64:65], v[83:84], -0.5, v[24:25]
	v_fma_f64 v[24:25], v[85:86], -0.5, v[24:25]
	;; [unrolled: 1-line block ×4, first 2 shown]
	v_add_f64_e64 v[83:84], v[14:15], -v[22:23]
	v_add_f64_e64 v[87:88], v[40:41], -v[38:39]
	;; [unrolled: 1-line block ×3, first 2 shown]
	v_add_f64_e32 v[36:37], v[91:92], v[36:37]
	v_add_f64_e32 v[38:39], v[58:59], v[38:39]
	v_add_f64_e64 v[85:86], v[22:23], -v[14:15]
	v_add_f64_e64 v[89:90], v[20:21], -v[26:27]
	v_fma_f64 v[58:59], v[52:53], s[6:7], v[64:65]
	v_fma_f64 v[64:65], v[52:53], s[2:3], v[64:65]
	;; [unrolled: 1-line block ×8, first 2 shown]
	v_add_f64_e32 v[62:63], v[62:63], v[83:84]
	v_add_f64_e32 v[22:23], v[36:37], v[22:23]
	;; [unrolled: 1-line block ×6, first 2 shown]
	v_fma_f64 v[36:37], v[56:57], s[14:15], v[58:59]
	v_fma_f64 v[38:39], v[56:57], s[12:13], v[64:65]
	;; [unrolled: 1-line block ×8, first 2 shown]
	v_add_f64_e32 v[14:15], v[22:23], v[14:15]
	v_add_f64_e32 v[26:27], v[26:27], v[20:21]
	v_fma_f64 v[36:37], v[62:63], s[16:17], v[36:37]
	v_fma_f64 v[38:39], v[62:63], s[16:17], v[38:39]
	;; [unrolled: 1-line block ×8, first 2 shown]
	v_add_nc_u32_e32 v40, 0xf80, v82
	v_add_nc_u32_e32 v44, 0x1f40, v82
	ds_store_2addr_b64 v68, v[14:15], v[36:37] offset1:10
	ds_store_2addr_b64 v68, v[46:47], v[24:25] offset0:20 offset1:30
	ds_store_b64 v68, v[38:39] offset:320
	ds_store_2addr_b64 v67, v[26:27], v[42:43] offset1:10
	ds_store_2addr_b64 v67, v[52:53], v[20:21] offset0:20 offset1:30
	ds_store_b64 v67, v[22:23] offset:320
	global_wb scope:SCOPE_SE
	s_wait_dscnt 0x0
	s_barrier_signal -1
	s_barrier_wait -1
	global_inv scope:SCOPE_SE
	ds_load_2addr_b64 v[12:15], v82 offset1:250
	ds_load_2addr_b64 v[40:43], v40 offset0:4 offset1:254
	ds_load_2addr_b64 v[44:47], v44 offset1:250
	ds_load_b64 v[58:59], v82 offset:12000
                                        ; implicit-def: $vgpr26_vgpr27
                                        ; implicit-def: $vgpr38_vgpr39
	s_and_saveexec_b32 s1, s0
	s_cbranch_execz .LBB0_17
; %bb.16:
	v_add_nc_u32_e32 v20, 0xd40, v82
	v_add_nc_u32_e32 v24, 0x1cc0, v82
	;; [unrolled: 1-line block ×3, first 2 shown]
	ds_load_b64 v[52:53], v81
	ds_load_2addr_b64 v[20:23], v20 offset0:1 offset1:251
	ds_load_2addr_b64 v[36:39], v24 offset0:5 offset1:255
	;; [unrolled: 1-line block ×3, first 2 shown]
.LBB0_17:
	s_wait_alu 0xfffe
	s_or_b32 exec_lo, exec_lo, s1
	v_mul_lo_u16 v56, v66, 41
	s_mov_b32 s6, 0x37e14327
	s_mov_b32 s14, 0xe976ee23
	;; [unrolled: 1-line block ×4, first 2 shown]
	v_lshrrev_b16 v131, 11, v56
	s_mov_b32 s15, 0xbfe11646
	s_mov_b32 s12, 0x429ad128
	;; [unrolled: 1-line block ×4, first 2 shown]
	v_mul_lo_u16 v56, v131, 50
	s_mov_b32 s20, 0xb247c609
	s_mov_b32 s24, 0xaaaaaaaa
	;; [unrolled: 1-line block ×4, first 2 shown]
	v_sub_nc_u16 v56, v70, v56
	s_mov_b32 s25, 0xbff2aaaa
	s_mov_b32 s17, 0x3fe77f67
	;; [unrolled: 1-line block ×4, first 2 shown]
	v_and_b32_e32 v132, 0xff, v56
	s_wait_alu 0xfffe
	s_mov_b32 s18, s16
	s_mov_b32 s22, s20
	;; [unrolled: 1-line block ×4, first 2 shown]
	v_mul_u32_u24_e32 v56, 6, v132
	s_delay_alu instid0(VALU_DEP_1)
	v_lshlrev_b32_e32 v56, 4, v56
	s_clause 0x5
	global_load_b128 v[60:63], v56, s[4:5] offset:784
	global_load_b128 v[64:67], v56, s[4:5] offset:768
	global_load_b128 v[83:86], v56, s[4:5] offset:848
	global_load_b128 v[87:90], v56, s[4:5] offset:832
	global_load_b128 v[91:94], v56, s[4:5] offset:800
	global_load_b128 v[95:98], v56, s[4:5] offset:816
	v_lshrrev_b16 v56, 1, v76
	s_delay_alu instid0(VALU_DEP_1) | instskip(NEXT) | instid1(VALU_DEP_1)
	v_and_b32_e32 v56, 0xffff, v56
	v_mul_u32_u24_e32 v56, 0x147b, v56
	s_delay_alu instid0(VALU_DEP_1) | instskip(NEXT) | instid1(VALU_DEP_1)
	v_lshrrev_b32_e32 v56, 17, v56
	v_mul_lo_u16 v56, v56, 50
	s_delay_alu instid0(VALU_DEP_1) | instskip(NEXT) | instid1(VALU_DEP_1)
	v_sub_nc_u16 v56, v76, v56
	v_and_b32_e32 v133, 0xffff, v56
	s_delay_alu instid0(VALU_DEP_1) | instskip(NEXT) | instid1(VALU_DEP_1)
	v_mul_u32_u24_e32 v56, 6, v133
	v_lshlrev_b32_e32 v56, 4, v56
	s_clause 0x5
	global_load_b128 v[99:102], v56, s[4:5] offset:768
	global_load_b128 v[103:106], v56, s[4:5] offset:784
	;; [unrolled: 1-line block ×6, first 2 shown]
	global_wb scope:SCOPE_SE
	s_wait_loadcnt_dscnt 0x0
	s_barrier_signal -1
	s_barrier_wait -1
	global_inv scope:SCOPE_SE
	v_mul_f64_e32 v[56:57], v[40:41], v[62:63]
	v_mul_f64_e32 v[68:69], v[14:15], v[66:67]
	;; [unrolled: 1-line block ×12, first 2 shown]
	v_fma_f64 v[56:57], v[28:29], v[60:61], -v[56:57]
	v_fma_f64 v[18:19], v[18:19], v[64:65], -v[68:69]
	;; [unrolled: 1-line block ×4, first 2 shown]
	v_fma_f64 v[40:41], v[40:41], v[60:61], v[62:63]
	v_fma_f64 v[54:55], v[14:15], v[64:65], v[66:67]
	;; [unrolled: 1-line block ×4, first 2 shown]
	v_fma_f64 v[30:31], v[30:31], v[91:92], -v[93:94]
	v_fma_f64 v[42:43], v[44:45], v[95:96], v[129:130]
	v_fma_f64 v[32:33], v[32:33], v[95:96], -v[97:98]
	v_fma_f64 v[44:45], v[58:59], v[83:84], v[85:86]
	v_mul_f64_e32 v[93:94], v[2:3], v[105:106]
	v_mul_f64_e32 v[95:96], v[36:37], v[109:110]
	;; [unrolled: 1-line block ×4, first 2 shown]
	v_add_f64_e32 v[58:59], v[18:19], v[28:29]
	v_add_f64_e32 v[60:61], v[56:57], v[34:35]
	v_add_f64_e64 v[62:63], v[40:41], -v[46:47]
	v_add_f64_e64 v[64:65], v[42:43], -v[14:15]
	v_add_f64_e32 v[68:69], v[30:31], v[32:33]
	v_add_f64_e64 v[66:67], v[54:55], -v[44:45]
	v_add_f64_e32 v[83:84], v[60:61], v[58:59]
	s_delay_alu instid0(VALU_DEP_4) | instskip(NEXT) | instid1(VALU_DEP_4)
	v_add_f64_e64 v[85:86], v[64:65], -v[62:63]
	v_add_f64_e64 v[89:90], v[58:59], -v[68:69]
	s_delay_alu instid0(VALU_DEP_4)
	v_add_f64_e64 v[87:88], v[62:63], -v[66:67]
	v_add_f64_e32 v[62:63], v[64:65], v[62:63]
	v_add_f64_e64 v[64:65], v[66:67], -v[64:65]
	v_add_f64_e64 v[58:59], v[60:61], -v[58:59]
	v_add_f64_e32 v[83:84], v[68:69], v[83:84]
	v_add_f64_e64 v[68:69], v[68:69], -v[60:61]
	v_mul_f64_e32 v[85:86], s[14:15], v[85:86]
	v_mul_f64_e32 v[89:90], s[6:7], v[89:90]
	;; [unrolled: 1-line block ×3, first 2 shown]
	v_add_f64_e32 v[62:63], v[62:63], v[66:67]
	v_add_f64_e32 v[16:17], v[16:17], v[83:84]
	v_mul_f64_e32 v[60:61], s[2:3], v[68:69]
	v_fma_f64 v[66:67], v[87:88], s[12:13], -v[85:86]
	v_fma_f64 v[85:86], v[64:65], s[20:21], v[85:86]
	v_fma_f64 v[68:69], v[68:69], s[2:3], v[89:90]
	s_wait_alu 0xfffe
	v_fma_f64 v[64:65], v[64:65], s[22:23], -v[91:92]
	v_fma_f64 v[87:88], v[58:59], s[18:19], -v[89:90]
	v_mul_f64_e32 v[89:90], v[0:1], v[101:102]
	v_mul_f64_e32 v[91:92], v[22:23], v[105:106]
	;; [unrolled: 1-line block ×3, first 2 shown]
	v_fma_f64 v[83:84], v[83:84], s[24:25], v[16:17]
	v_fma_f64 v[58:59], v[58:59], s[16:17], -v[60:61]
	v_mul_f64_e32 v[60:61], v[20:21], v[101:102]
	v_mul_f64_e32 v[101:102], v[38:39], v[113:114]
	;; [unrolled: 1-line block ×5, first 2 shown]
	v_fma_f64 v[85:86], v[62:63], s[26:27], v[85:86]
	v_fma_f64 v[123:124], v[62:63], s[26:27], v[66:67]
	;; [unrolled: 1-line block ×4, first 2 shown]
	v_fma_f64 v[22:23], v[8:9], v[107:108], -v[95:96]
	v_fma_f64 v[64:65], v[36:37], v[107:108], v[97:98]
	v_fma_f64 v[38:39], v[38:39], v[111:112], v[105:106]
	v_fma_f64 v[66:67], v[4:5], v[115:116], -v[109:110]
	v_add_f64_e32 v[127:128], v[68:69], v[83:84]
	v_add_f64_e32 v[87:88], v[87:88], v[83:84]
	;; [unrolled: 1-line block ×3, first 2 shown]
	v_fma_f64 v[58:59], v[0:1], v[99:100], -v[60:61]
	v_fma_f64 v[60:61], v[20:21], v[99:100], v[89:90]
	v_fma_f64 v[20:21], v[2:3], v[103:104], -v[91:92]
	v_fma_f64 v[36:37], v[10:11], v[111:112], -v[101:102]
	v_fma_f64 v[68:69], v[24:25], v[115:116], v[113:114]
	v_fma_f64 v[24:25], v[6:7], v[119:120], -v[117:118]
	v_fma_f64 v[26:27], v[26:27], v[119:120], v[121:122]
	v_and_b32_e32 v0, 0xffff, v131
	v_sub_nc_u32_e32 v1, 0, v79
	v_lshlrev_b32_e32 v79, 3, v133
	v_add_f64_e32 v[2:3], v[85:86], v[127:128]
	v_add_f64_e32 v[4:5], v[125:126], v[87:88]
	v_add_f64_e64 v[6:7], v[83:84], -v[123:124]
	v_add_f64_e32 v[8:9], v[123:124], v[83:84]
	v_add_f64_e64 v[10:11], v[87:88], -v[125:126]
	v_add_f64_e64 v[84:85], v[127:128], -v[85:86]
	v_mul_u32_u24_e32 v83, 0xaf0, v0
	v_lshlrev_b32_e32 v86, 3, v132
	v_sub_nc_u32_e32 v0, 0, v80
	v_and_b32_e32 v80, 0xff, v76
	s_delay_alu instid0(VALU_DEP_3)
	v_add3_u32 v83, 0, v83, v86
	ds_store_2addr_b64 v83, v[16:17], v[2:3] offset1:50
	ds_store_2addr_b64 v83, v[4:5], v[6:7] offset0:100 offset1:150
	ds_store_2addr_b64 v83, v[8:9], v[10:11] offset0:200 offset1:250
	ds_store_b64 v83, v[84:85] offset:2400
	s_and_saveexec_b32 s1, s0
	s_cbranch_execz .LBB0_19
; %bb.18:
	v_add_f64_e32 v[2:3], v[20:21], v[66:67]
	v_add_f64_e32 v[4:5], v[58:59], v[24:25]
	v_add_f64_e64 v[6:7], v[38:39], -v[64:65]
	v_add_f64_e64 v[8:9], v[62:63], -v[68:69]
	v_add_f64_e32 v[10:11], v[22:23], v[36:37]
	v_add_f64_e64 v[16:17], v[60:61], -v[26:27]
	v_add_f64_e32 v[84:85], v[2:3], v[4:5]
	s_delay_alu instid0(VALU_DEP_4) | instskip(NEXT) | instid1(VALU_DEP_4)
	v_add_f64_e64 v[86:87], v[6:7], -v[8:9]
	v_add_f64_e64 v[88:89], v[4:5], -v[10:11]
	s_delay_alu instid0(VALU_DEP_4)
	v_add_f64_e64 v[90:91], v[8:9], -v[16:17]
	v_add_f64_e32 v[8:9], v[6:7], v[8:9]
	v_add_f64_e64 v[6:7], v[16:17], -v[6:7]
	v_add_f64_e32 v[84:85], v[10:11], v[84:85]
	v_add_f64_e64 v[10:11], v[10:11], -v[2:3]
	v_add_f64_e64 v[2:3], v[2:3], -v[4:5]
	v_mul_f64_e32 v[4:5], s[14:15], v[86:87]
	v_mul_f64_e32 v[86:87], s[6:7], v[88:89]
	;; [unrolled: 1-line block ×3, first 2 shown]
	v_add_f64_e32 v[8:9], v[8:9], v[16:17]
	v_add_f64_e32 v[50:51], v[50:51], v[84:85]
	v_mul_f64_e32 v[92:93], s[2:3], v[10:11]
	v_fma_f64 v[16:17], v[6:7], s[20:21], v[4:5]
	v_fma_f64 v[10:11], v[10:11], s[2:3], v[86:87]
	v_fma_f64 v[94:95], v[2:3], s[18:19], -v[86:87]
	v_fma_f64 v[6:7], v[6:7], s[22:23], -v[88:89]
	;; [unrolled: 1-line block ×3, first 2 shown]
	v_fma_f64 v[84:85], v[84:85], s[24:25], v[50:51]
	v_fma_f64 v[2:3], v[2:3], s[16:17], -v[92:93]
	v_fma_f64 v[16:17], v[8:9], s[26:27], v[16:17]
	v_fma_f64 v[6:7], v[8:9], s[26:27], v[6:7]
	;; [unrolled: 1-line block ×3, first 2 shown]
	v_add_f64_e32 v[10:11], v[10:11], v[84:85]
	v_add_f64_e32 v[8:9], v[94:95], v[84:85]
	;; [unrolled: 1-line block ×3, first 2 shown]
	s_delay_alu instid0(VALU_DEP_3) | instskip(NEXT) | instid1(VALU_DEP_3)
	v_add_f64_e32 v[88:89], v[16:17], v[10:11]
	v_add_f64_e64 v[84:85], v[8:9], -v[6:7]
	s_delay_alu instid0(VALU_DEP_3) | instskip(SKIP_4) | instid1(VALU_DEP_1)
	v_add_f64_e64 v[86:87], v[2:3], -v[4:5]
	v_add_f64_e32 v[6:7], v[6:7], v[8:9]
	v_add_f64_e32 v[2:3], v[4:5], v[2:3]
	v_add_f64_e64 v[4:5], v[10:11], -v[16:17]
	v_mul_lo_u16 v8, v80, 41
	v_lshrrev_b16 v8, 11, v8
	s_delay_alu instid0(VALU_DEP_1) | instskip(NEXT) | instid1(VALU_DEP_1)
	v_and_b32_e32 v8, 0xffff, v8
	v_mul_u32_u24_e32 v8, 0xaf0, v8
	s_delay_alu instid0(VALU_DEP_1)
	v_add3_u32 v8, 0, v8, v79
	ds_store_2addr_b64 v8, v[50:51], v[88:89] offset1:50
	ds_store_2addr_b64 v8, v[6:7], v[86:87] offset0:100 offset1:150
	ds_store_2addr_b64 v8, v[2:3], v[84:85] offset0:200 offset1:250
	ds_store_b64 v8, v[4:5] offset:2400
.LBB0_19:
	s_wait_alu 0xfffe
	s_or_b32 exec_lo, exec_lo, s1
	v_add_f64_e32 v[2:3], v[54:55], v[44:45]
	v_add_f64_e32 v[4:5], v[40:41], v[46:47]
	v_add_f64_e64 v[6:7], v[56:57], -v[34:35]
	v_add_f64_e32 v[8:9], v[14:15], v[42:43]
	v_add_f64_e64 v[10:11], v[32:33], -v[30:31]
	v_add_f64_e64 v[14:15], v[18:19], -v[28:29]
	global_wb scope:SCOPE_SE
	s_wait_dscnt 0x0
	s_barrier_signal -1
	s_barrier_wait -1
	global_inv scope:SCOPE_SE
	v_add_f64_e32 v[16:17], v[4:5], v[2:3]
	v_add_f64_e64 v[18:19], v[2:3], -v[8:9]
	v_add_f64_e64 v[28:29], v[10:11], -v[6:7]
	;; [unrolled: 1-line block ×3, first 2 shown]
	v_add_f64_e32 v[6:7], v[10:11], v[6:7]
	v_add_f64_e64 v[10:11], v[14:15], -v[10:11]
	v_add_f64_e64 v[2:3], v[4:5], -v[2:3]
	v_add_f64_e32 v[16:17], v[8:9], v[16:17]
	v_add_f64_e64 v[8:9], v[8:9], -v[4:5]
	v_mul_f64_e32 v[18:19], s[6:7], v[18:19]
	v_mul_f64_e32 v[28:29], s[14:15], v[28:29]
	;; [unrolled: 1-line block ×3, first 2 shown]
	v_add_f64_e32 v[6:7], v[6:7], v[14:15]
	v_add_f64_e32 v[34:35], v[12:13], v[16:17]
	v_mul_f64_e32 v[4:5], s[2:3], v[8:9]
	v_fma_f64 v[8:9], v[8:9], s[2:3], v[18:19]
	v_fma_f64 v[12:13], v[10:11], s[20:21], v[28:29]
	v_fma_f64 v[14:15], v[30:31], s[12:13], -v[28:29]
	v_fma_f64 v[10:11], v[10:11], s[22:23], -v[32:33]
	;; [unrolled: 1-line block ×3, first 2 shown]
	v_add_nc_u32_e32 v28, v77, v1
	v_add_nc_u32_e32 v29, v78, v0
	;; [unrolled: 1-line block ×3, first 2 shown]
	v_fma_f64 v[16:17], v[16:17], s[24:25], v[34:35]
	v_fma_f64 v[2:3], v[2:3], s[16:17], -v[4:5]
	v_fma_f64 v[4:5], v[6:7], s[26:27], v[12:13]
	v_fma_f64 v[12:13], v[6:7], s[26:27], v[14:15]
	;; [unrolled: 1-line block ×3, first 2 shown]
	v_add_f64_e32 v[8:9], v[8:9], v[16:17]
	v_add_f64_e32 v[10:11], v[18:19], v[16:17]
	;; [unrolled: 1-line block ×3, first 2 shown]
	s_delay_alu instid0(VALU_DEP_3) | instskip(NEXT) | instid1(VALU_DEP_3)
	v_add_f64_e64 v[30:31], v[8:9], -v[4:5]
	v_add_f64_e64 v[32:33], v[10:11], -v[6:7]
	s_delay_alu instid0(VALU_DEP_3)
	v_add_f64_e32 v[40:41], v[12:13], v[2:3]
	v_add_f64_e64 v[42:43], v[2:3], -v[12:13]
	v_add_f64_e32 v[44:45], v[6:7], v[10:11]
	v_add_f64_e32 v[46:47], v[4:5], v[8:9]
	v_add_nc_u32_e32 v4, 0x2400, v82
	ds_load_b64 v[16:17], v82 offset:4200
	ds_load_b64 v[18:19], v82 offset:12600
	ds_load_b64 v[14:15], v28
	ds_load_b64 v[12:13], v29
	ds_load_2addr_b64 v[0:3], v0 offset0:43 offset1:218
	ds_load_2addr_b64 v[4:7], v4 offset0:73 offset1:248
	ds_load_b64 v[10:11], v82
	ds_load_b64 v[8:9], v81
	global_wb scope:SCOPE_SE
	s_wait_dscnt 0x0
	s_barrier_signal -1
	s_barrier_wait -1
	global_inv scope:SCOPE_SE
	ds_store_2addr_b64 v83, v[34:35], v[30:31] offset1:50
	ds_store_2addr_b64 v83, v[32:33], v[40:41] offset0:100 offset1:150
	ds_store_2addr_b64 v83, v[42:43], v[44:45] offset0:200 offset1:250
	ds_store_b64 v83, v[46:47] offset:2400
	s_and_saveexec_b32 s1, s0
	s_cbranch_execz .LBB0_21
; %bb.20:
	v_add_f64_e32 v[26:27], v[60:61], v[26:27]
	v_add_f64_e32 v[30:31], v[62:63], v[68:69]
	v_add_f64_e32 v[32:33], v[64:65], v[38:39]
	v_add_f64_e64 v[20:21], v[20:21], -v[66:67]
	v_add_f64_e64 v[22:23], v[36:37], -v[22:23]
	;; [unrolled: 1-line block ×3, first 2 shown]
	s_mov_b32 s2, 0x37e14327
	s_mov_b32 s3, 0x3fe948f6
	;; [unrolled: 1-line block ×10, first 2 shown]
	v_add_f64_e32 v[34:35], v[30:31], v[26:27]
	v_add_f64_e64 v[36:37], v[26:27], -v[32:33]
	v_add_f64_e64 v[38:39], v[32:33], -v[30:31]
	;; [unrolled: 1-line block ×5, first 2 shown]
	v_add_f64_e32 v[20:21], v[22:23], v[20:21]
	v_add_f64_e64 v[22:23], v[24:25], -v[22:23]
	v_add_f64_e32 v[32:33], v[32:33], v[34:35]
	s_wait_alu 0xfffe
	v_mul_f64_e32 v[30:31], s[2:3], v[36:37]
	s_mov_b32 s2, 0x429ad128
	v_mul_f64_e32 v[36:37], s[12:13], v[40:41]
	s_mov_b32 s3, 0x3febfeb5
	v_mul_f64_e32 v[34:35], s[6:7], v[38:39]
	s_wait_alu 0xfffe
	v_mul_f64_e32 v[40:41], s[2:3], v[42:43]
	s_mov_b32 s12, 0xaaaaaaaa
	s_mov_b32 s13, 0xbff2aaaa
	v_add_f64_e32 v[20:21], v[20:21], v[24:25]
	v_add_f64_e32 v[44:45], v[52:53], v[32:33]
	v_fma_f64 v[24:25], v[38:39], s[6:7], v[30:31]
	v_fma_f64 v[38:39], v[22:23], s[16:17], v[36:37]
	s_mov_b32 s17, 0xbfd5d0dc
	v_fma_f64 v[34:35], v[26:27], s[14:15], -v[34:35]
	s_mov_b32 s15, 0xbfe77f67
	v_fma_f64 v[36:37], v[42:43], s[2:3], -v[36:37]
	s_wait_alu 0xfffe
	v_fma_f64 v[22:23], v[22:23], s[16:17], -v[40:41]
	v_fma_f64 v[26:27], v[26:27], s[14:15], -v[30:31]
	s_mov_b32 s2, 0x37c3f68c
	s_mov_b32 s3, 0x3fdc38aa
	v_fma_f64 v[32:33], v[32:33], s[12:13], v[44:45]
	s_wait_alu 0xfffe
	v_fma_f64 v[30:31], v[20:21], s[2:3], v[38:39]
	v_fma_f64 v[36:37], v[20:21], s[2:3], v[36:37]
	;; [unrolled: 1-line block ×3, first 2 shown]
	s_delay_alu instid0(VALU_DEP_4) | instskip(SKIP_2) | instid1(VALU_DEP_3)
	v_add_f64_e32 v[22:23], v[24:25], v[32:33]
	v_add_f64_e32 v[24:25], v[26:27], v[32:33]
	;; [unrolled: 1-line block ×3, first 2 shown]
	v_add_f64_e64 v[32:33], v[22:23], -v[30:31]
	s_delay_alu instid0(VALU_DEP_3) | instskip(NEXT) | instid1(VALU_DEP_3)
	v_add_f64_e64 v[34:35], v[24:25], -v[20:21]
	v_add_f64_e32 v[38:39], v[36:37], v[26:27]
	v_add_f64_e64 v[26:27], v[26:27], -v[36:37]
	v_add_f64_e32 v[20:21], v[20:21], v[24:25]
	v_add_f64_e32 v[22:23], v[30:31], v[22:23]
	v_mul_lo_u16 v24, v80, 41
	s_delay_alu instid0(VALU_DEP_1) | instskip(NEXT) | instid1(VALU_DEP_1)
	v_lshrrev_b16 v24, 11, v24
	v_and_b32_e32 v24, 0xffff, v24
	s_delay_alu instid0(VALU_DEP_1) | instskip(NEXT) | instid1(VALU_DEP_1)
	v_mul_u32_u24_e32 v24, 0xaf0, v24
	v_add3_u32 v24, 0, v24, v79
	ds_store_2addr_b64 v24, v[44:45], v[32:33] offset1:50
	ds_store_2addr_b64 v24, v[34:35], v[38:39] offset0:100 offset1:150
	ds_store_2addr_b64 v24, v[26:27], v[20:21] offset0:200 offset1:250
	ds_store_b64 v24, v[22:23] offset:2400
.LBB0_21:
	s_wait_alu 0xfffe
	s_or_b32 exec_lo, exec_lo, s1
	global_wb scope:SCOPE_SE
	s_wait_dscnt 0x0
	s_barrier_signal -1
	s_barrier_wait -1
	global_inv scope:SCOPE_SE
	s_and_saveexec_b32 s0, vcc_lo
	s_cbranch_execz .LBB0_23
; %bb.22:
	v_dual_mov_b32 v21, 0 :: v_dual_lshlrev_b32 v20, 2, v76
	v_add_nc_u32_e32 v58, 0x2400, v82
	v_add_nc_u32_e32 v62, 0x1a00, v82
	v_mad_co_u64_u32 v[97:98], null, s8, v70, 0
	s_delay_alu instid0(VALU_DEP_4) | instskip(SKIP_4) | instid1(VALU_DEP_3)
	v_lshlrev_b64_e32 v[22:23], 4, v[20:21]
	v_lshlrev_b32_e32 v20, 2, v70
	v_mad_co_u64_u32 v[99:100], null, s8, v73, 0
	s_mov_b32 s6, 0x134454ff
	s_mov_b32 s7, 0xbfee6f0e
	v_add_co_u32 v34, vcc_lo, s4, v22
	v_lshlrev_b64_e32 v[30:31], 4, v[20:21]
	s_wait_alu 0xfffd
	v_add_co_ci_u32_e32 v35, vcc_lo, s5, v23, vcc_lo
	s_mov_b32 s13, 0x3fee6f0e
	s_clause 0x1
	global_load_b128 v[20:23], v[34:35], off offset:5584
	global_load_b128 v[24:27], v[34:35], off offset:5568
	v_add_co_u32 v46, vcc_lo, s4, v30
	s_wait_alu 0xfffd
	v_add_co_ci_u32_e32 v47, vcc_lo, s5, v31, vcc_lo
	s_clause 0x5
	global_load_b128 v[30:33], v[34:35], off offset:5600
	global_load_b128 v[34:37], v[34:35], off offset:5616
	;; [unrolled: 1-line block ×6, first 2 shown]
	ds_load_b64 v[46:47], v82 offset:4200
	ds_load_b64 v[66:67], v82 offset:12600
	ds_load_b64 v[68:69], v28
	ds_load_2addr_b64 v[58:61], v58 offset0:73 offset1:248
	ds_load_b64 v[28:29], v29
	ds_load_2addr_b64 v[62:65], v62 offset0:43 offset1:218
	ds_load_b64 v[87:88], v82
	ds_load_b64 v[80:81], v81
	v_add_co_u32 v135, vcc_lo, s10, v48
	s_wait_alu 0xfffd
	v_add_co_ci_u32_e32 v136, vcc_lo, s11, v49, vcc_lo
	v_mad_co_u64_u32 v[48:49], null, s8, v72, 0
	s_wait_alu 0xfffe
	s_mov_b32 s12, s6
	s_mov_b32 s2, 0x4755a5e
	s_mov_b32 s3, 0x3fe2cf23
	s_mov_b32 s5, 0xbfe2cf23
	s_wait_alu 0xfffe
	s_mov_b32 s4, s2
	s_mov_b32 s0, 0x372fe950
	s_mov_b32 s1, 0x3fd3c6ef
	s_wait_loadcnt 0x7
	v_mul_f64_e32 v[76:77], v[0:1], v[22:23]
	s_wait_loadcnt 0x6
	v_mul_f64_e32 v[78:79], v[16:17], v[26:27]
	s_wait_dscnt 0x7
	v_mul_f64_e32 v[26:27], v[46:47], v[26:27]
	s_wait_loadcnt 0x4
	v_mul_f64_e32 v[85:86], v[18:19], v[36:37]
	s_wait_loadcnt 0x3
	v_mul_f64_e32 v[89:90], v[12:13], v[40:41]
	s_wait_dscnt 0x6
	v_mul_f64_e32 v[36:37], v[66:67], v[36:37]
	s_wait_loadcnt 0x2
	v_mul_f64_e32 v[91:92], v[14:15], v[44:45]
	s_wait_loadcnt 0x1
	;; [unrolled: 2-line block ×3, first 2 shown]
	v_mul_f64_e32 v[95:96], v[6:7], v[56:57]
	s_wait_dscnt 0x5
	v_mul_f64_e32 v[44:45], v[68:69], v[44:45]
	s_wait_dscnt 0x4
	;; [unrolled: 2-line block ×4, first 2 shown]
	v_mul_f64_e32 v[52:53], v[64:65], v[52:53]
	v_mul_f64_e32 v[83:84], v[4:5], v[32:33]
	;; [unrolled: 1-line block ×4, first 2 shown]
	v_fma_f64 v[62:63], v[62:63], v[20:21], v[76:77]
	v_fma_f64 v[46:47], v[46:47], v[24:25], v[78:79]
	v_fma_f64 v[16:17], v[16:17], v[24:25], -v[26:27]
	v_fma_f64 v[66:67], v[66:67], v[34:35], v[85:86]
	v_fma_f64 v[24:25], v[28:29], v[38:39], v[89:90]
	v_fma_f64 v[18:19], v[18:19], v[34:35], -v[36:37]
	v_fma_f64 v[26:27], v[68:69], v[42:43], v[91:92]
	v_fma_f64 v[28:29], v[64:65], v[50:51], v[93:94]
	;; [unrolled: 1-line block ×3, first 2 shown]
	v_fma_f64 v[14:15], v[14:15], v[42:43], -v[44:45]
	v_fma_f64 v[36:37], v[6:7], v[54:55], -v[56:57]
	;; [unrolled: 1-line block ×4, first 2 shown]
	v_fma_f64 v[58:59], v[58:59], v[30:31], v[83:84]
	v_fma_f64 v[0:1], v[0:1], v[20:21], -v[22:23]
	v_fma_f64 v[4:5], v[4:5], v[30:31], -v[32:33]
	v_mul_hi_u32 v31, 0x5d9f7391, v71
	v_mov_b32_e32 v23, v49
	v_mad_co_u64_u32 v[12:13], null, s8, v74, 0
	v_mad_co_u64_u32 v[20:21], null, s8, v75, 0
	s_delay_alu instid0(VALU_DEP_4) | instskip(NEXT) | instid1(VALU_DEP_1)
	v_lshrrev_b32_e32 v38, 7, v31
	v_mad_u32_u24 v86, 0x578, v38, v71
	v_mov_b32_e32 v22, v98
	s_delay_alu instid0(VALU_DEP_2) | instskip(SKIP_1) | instid1(VALU_DEP_3)
	v_dual_mov_b32 v30, v100 :: v_dual_add_nc_u32 v139, 0x41a, v86
	v_add_nc_u32_e32 v137, 0x15e, v86
	v_mad_co_u64_u32 v[31:32], null, s9, v70, v[22:23]
	s_wait_dscnt 0x0
	v_add_f64_e32 v[76:77], v[46:47], v[80:81]
	v_add_f64_e32 v[82:83], v[8:9], v[16:17]
	v_add_f64_e32 v[42:43], v[46:47], v[66:67]
	v_mad_co_u64_u32 v[22:23], null, s9, v72, v[23:24]
	v_add_f64_e32 v[50:51], v[16:17], v[18:19]
	v_add_f64_e32 v[54:55], v[24:25], v[28:29]
	v_add_f64_e32 v[52:53], v[26:27], v[34:35]
	v_mad_co_u64_u32 v[38:39], null, s9, v74, v[13:14]
	;; [unrolled: 4-line block ×3, first 2 shown]
	v_mov_b32_e32 v49, v22
	v_add_f64_e32 v[22:23], v[0:1], v[4:5]
	v_mad_co_u64_u32 v[32:33], null, s9, v73, v[30:31]
	v_mad_co_u64_u32 v[40:41], null, s8, v86, 0
	v_add_f64_e32 v[84:85], v[26:27], v[87:88]
	v_add_f64_e32 v[89:90], v[10:11], v[14:15]
	v_dual_mov_b32 v21, v39 :: v_dual_add_nc_u32 v138, 0x2bc, v86
	v_add_f64_e64 v[74:75], v[0:1], -v[4:5]
	v_add_f64_e64 v[91:92], v[14:15], -v[36:37]
	;; [unrolled: 1-line block ×4, first 2 shown]
	v_mad_co_u64_u32 v[68:69], null, s8, v138, 0
	v_add_nc_u32_e32 v140, 0x578, v86
	v_add_f64_e64 v[78:79], v[62:63], -v[58:59]
	v_mad_co_u64_u32 v[70:71], null, s8, v139, 0
	v_mov_b32_e32 v98, v31
	v_add_f64_e64 v[103:104], v[0:1], -v[16:17]
	v_add_f64_e64 v[109:110], v[24:25], -v[26:27]
	;; [unrolled: 1-line block ×4, first 2 shown]
	v_fma_f64 v[42:43], v[42:43], -0.5, v[80:81]
	v_add_f64_e64 v[14:15], v[14:15], -v[6:7]
	v_mov_b32_e32 v13, v38
	v_fma_f64 v[50:51], v[50:51], -0.5, v[8:9]
	v_fma_f64 v[54:55], v[54:55], -0.5, v[87:88]
	;; [unrolled: 1-line block ×3, first 2 shown]
	v_add_f64_e64 v[101:102], v[66:67], -v[58:59]
	v_add_f64_e64 v[105:106], v[4:5], -v[18:19]
	v_fma_f64 v[56:57], v[56:57], -0.5, v[10:11]
	v_fma_f64 v[10:11], v[60:61], -0.5, v[10:11]
	;; [unrolled: 1-line block ×3, first 2 shown]
	v_add_f64_e64 v[80:81], v[6:7], -v[2:3]
	v_add_f64_e64 v[113:114], v[34:35], -v[28:29]
	;; [unrolled: 1-line block ×3, first 2 shown]
	v_fma_f64 v[8:9], v[22:23], -0.5, v[8:9]
	v_add_f64_e64 v[111:112], v[28:29], -v[34:35]
	v_add_f64_e64 v[117:118], v[2:3], -v[36:37]
	;; [unrolled: 1-line block ×3, first 2 shown]
	v_mov_b32_e32 v23, v69
	v_add_f64_e32 v[24:25], v[24:25], v[84:85]
	v_add_f64_e32 v[6:7], v[6:7], v[89:90]
	v_mad_co_u64_u32 v[72:73], null, s8, v140, 0
	v_mad_co_u64_u32 v[64:65], null, s8, v137, 0
	v_lshlrev_b64_e32 v[12:13], 4, v[12:13]
	v_lshlrev_b64_e32 v[20:21], 4, v[20:21]
	s_delay_alu instid0(VALU_DEP_3)
	v_mov_b32_e32 v22, v65
	v_mad_co_u64_u32 v[60:61], null, s9, v86, v[41:42]
	v_mov_b32_e32 v100, v32
	v_lshlrev_b64_e32 v[32:33], 4, v[48:49]
	v_add_f64_e64 v[48:49], v[16:17], -v[18:19]
	v_add_f64_e64 v[86:87], v[46:47], -v[66:67]
	v_add_f64_e64 v[16:17], v[16:17], -v[0:1]
	v_add_f64_e32 v[0:1], v[0:1], v[82:83]
	v_lshlrev_b64_e32 v[38:39], 4, v[99:100]
	v_mov_b32_e32 v41, v71
	v_lshlrev_b64_e32 v[30:31], 4, v[97:98]
	v_add_f64_e64 v[97:98], v[62:63], -v[46:47]
	v_add_f64_e64 v[99:100], v[58:59], -v[66:67]
	;; [unrolled: 1-line block ×3, first 2 shown]
	v_add_f64_e32 v[61:62], v[62:63], v[76:77]
	v_fma_f64 v[76:77], v[74:75], s[6:7], v[42:43]
	v_fma_f64 v[42:43], v[74:75], s[12:13], v[42:43]
	;; [unrolled: 1-line block ×12, first 2 shown]
	v_add_co_u32 v129, vcc_lo, v135, v30
	s_wait_alu 0xfffd
	v_add_co_ci_u32_e32 v130, vcc_lo, v136, v31, vcc_lo
	v_add_co_u32 v131, vcc_lo, v135, v32
	s_wait_alu 0xfffd
	v_add_co_ci_u32_e32 v132, vcc_lo, v136, v33, vcc_lo
	;; [unrolled: 3-line block ×3, first 2 shown]
	v_mov_b32_e32 v30, v73
	v_fma_f64 v[82:83], v[48:49], s[12:13], v[44:45]
	v_fma_f64 v[44:45], v[48:49], s[6:7], v[44:45]
	;; [unrolled: 1-line block ×4, first 2 shown]
	v_add_f64_e32 v[0:1], v[0:1], v[4:5]
	v_add_f64_e32 v[4:5], v[28:29], v[24:25]
	;; [unrolled: 1-line block ×10, first 2 shown]
	v_fma_f64 v[26:27], v[48:49], s[2:3], v[76:77]
	s_wait_alu 0xfffe
	v_fma_f64 v[28:29], v[48:49], s[4:5], v[42:43]
	v_fma_f64 v[54:55], v[80:81], s[4:5], v[54:55]
	;; [unrolled: 1-line block ×3, first 2 shown]
	v_add_f64_e32 v[97:98], v[109:110], v[111:112]
	v_add_f64_e32 v[101:102], v[115:116], v[117:118]
	v_fma_f64 v[52:53], v[91:92], s[4:5], v[52:53]
	v_fma_f64 v[76:77], v[95:96], s[2:3], v[125:126]
	;; [unrolled: 1-line block ×7, first 2 shown]
	v_mad_co_u64_u32 v[2:3], null, s9, v137, v[22:23]
	s_delay_alu instid0(VALU_DEP_1)
	v_mov_b32_e32 v65, v2
	v_fma_f64 v[42:43], v[74:75], s[2:3], v[82:83]
	v_fma_f64 v[44:45], v[74:75], s[4:5], v[44:45]
	;; [unrolled: 1-line block ×5, first 2 shown]
	v_add_co_u32 v82, vcc_lo, v135, v12
	v_mad_co_u64_u32 v[86:87], null, s9, v138, v[23:24]
	s_wait_alu 0xfffd
	v_add_co_ci_u32_e32 v83, vcc_lo, v136, v13, vcc_lo
	v_add_f64_e32 v[6:7], v[34:35], v[4:5]
	v_add_f64_e32 v[4:5], v[24:25], v[36:37]
	v_add_co_u32 v84, vcc_lo, v135, v20
	v_mov_b32_e32 v69, v86
	v_add_f64_e32 v[2:3], v[66:67], v[14:15]
	v_fma_f64 v[10:11], v[31:32], s[0:1], v[26:27]
	v_fma_f64 v[14:15], v[31:32], s[0:1], v[28:29]
	;; [unrolled: 1-line block ×6, first 2 shown]
	s_wait_alu 0xfffd
	v_add_co_ci_u32_e32 v85, vcc_lo, v136, v21, vcc_lo
	v_fma_f64 v[22:23], v[97:98], s[0:1], v[48:49]
	v_fma_f64 v[20:21], v[101:102], s[0:1], v[56:57]
	;; [unrolled: 1-line block ×3, first 2 shown]
	v_add_f64_e32 v[0:1], v[0:1], v[18:19]
	v_fma_f64 v[12:13], v[46:47], s[0:1], v[50:51]
	v_mad_co_u64_u32 v[87:88], null, s9, v139, v[41:42]
	v_mad_co_u64_u32 v[88:89], null, s9, v140, v[30:31]
	v_fma_f64 v[30:31], v[99:100], s[0:1], v[58:59]
	v_fma_f64 v[18:19], v[38:39], s[0:1], v[42:43]
	;; [unrolled: 1-line block ×6, first 2 shown]
	v_mov_b32_e32 v41, v60
	v_lshlrev_b64_e32 v[42:43], 4, v[64:65]
	v_mov_b32_e32 v71, v87
	v_lshlrev_b64_e32 v[44:45], 4, v[68:69]
	;; [unrolled: 2-line block ×3, first 2 shown]
	s_delay_alu instid0(VALU_DEP_4) | instskip(NEXT) | instid1(VALU_DEP_3)
	v_lshlrev_b64_e32 v[46:47], 4, v[70:71]
	v_lshlrev_b64_e32 v[48:49], 4, v[72:73]
	s_delay_alu instid0(VALU_DEP_3) | instskip(SKIP_1) | instid1(VALU_DEP_4)
	v_add_co_u32 v40, vcc_lo, v135, v40
	s_wait_alu 0xfffd
	v_add_co_ci_u32_e32 v41, vcc_lo, v136, v41, vcc_lo
	v_add_co_u32 v42, vcc_lo, v135, v42
	s_wait_alu 0xfffd
	v_add_co_ci_u32_e32 v43, vcc_lo, v136, v43, vcc_lo
	;; [unrolled: 3-line block ×5, first 2 shown]
	s_clause 0x9
	global_store_b128 v[129:130], v[4:7], off
	global_store_b128 v[131:132], v[32:35], off
	;; [unrolled: 1-line block ×10, first 2 shown]
.LBB0_23:
	s_nop 0
	s_sendmsg sendmsg(MSG_DEALLOC_VGPRS)
	s_endpgm
	.section	.rodata,"a",@progbits
	.p2align	6, 0x0
	.amdhsa_kernel fft_rtc_fwd_len1750_factors_2_5_5_7_5_wgs_175_tpt_175_halfLds_dp_ip_CI_sbrr_dirReg
		.amdhsa_group_segment_fixed_size 0
		.amdhsa_private_segment_fixed_size 0
		.amdhsa_kernarg_size 88
		.amdhsa_user_sgpr_count 2
		.amdhsa_user_sgpr_dispatch_ptr 0
		.amdhsa_user_sgpr_queue_ptr 0
		.amdhsa_user_sgpr_kernarg_segment_ptr 1
		.amdhsa_user_sgpr_dispatch_id 0
		.amdhsa_user_sgpr_private_segment_size 0
		.amdhsa_wavefront_size32 1
		.amdhsa_uses_dynamic_stack 0
		.amdhsa_enable_private_segment 0
		.amdhsa_system_sgpr_workgroup_id_x 1
		.amdhsa_system_sgpr_workgroup_id_y 0
		.amdhsa_system_sgpr_workgroup_id_z 0
		.amdhsa_system_sgpr_workgroup_info 0
		.amdhsa_system_vgpr_workitem_id 0
		.amdhsa_next_free_vgpr 141
		.amdhsa_next_free_sgpr 35
		.amdhsa_reserve_vcc 1
		.amdhsa_float_round_mode_32 0
		.amdhsa_float_round_mode_16_64 0
		.amdhsa_float_denorm_mode_32 3
		.amdhsa_float_denorm_mode_16_64 3
		.amdhsa_fp16_overflow 0
		.amdhsa_workgroup_processor_mode 1
		.amdhsa_memory_ordered 1
		.amdhsa_forward_progress 0
		.amdhsa_round_robin_scheduling 0
		.amdhsa_exception_fp_ieee_invalid_op 0
		.amdhsa_exception_fp_denorm_src 0
		.amdhsa_exception_fp_ieee_div_zero 0
		.amdhsa_exception_fp_ieee_overflow 0
		.amdhsa_exception_fp_ieee_underflow 0
		.amdhsa_exception_fp_ieee_inexact 0
		.amdhsa_exception_int_div_zero 0
	.end_amdhsa_kernel
	.text
.Lfunc_end0:
	.size	fft_rtc_fwd_len1750_factors_2_5_5_7_5_wgs_175_tpt_175_halfLds_dp_ip_CI_sbrr_dirReg, .Lfunc_end0-fft_rtc_fwd_len1750_factors_2_5_5_7_5_wgs_175_tpt_175_halfLds_dp_ip_CI_sbrr_dirReg
                                        ; -- End function
	.section	.AMDGPU.csdata,"",@progbits
; Kernel info:
; codeLenInByte = 10444
; NumSgprs: 37
; NumVgprs: 141
; ScratchSize: 0
; MemoryBound: 1
; FloatMode: 240
; IeeeMode: 1
; LDSByteSize: 0 bytes/workgroup (compile time only)
; SGPRBlocks: 4
; VGPRBlocks: 17
; NumSGPRsForWavesPerEU: 37
; NumVGPRsForWavesPerEU: 141
; Occupancy: 10
; WaveLimiterHint : 1
; COMPUTE_PGM_RSRC2:SCRATCH_EN: 0
; COMPUTE_PGM_RSRC2:USER_SGPR: 2
; COMPUTE_PGM_RSRC2:TRAP_HANDLER: 0
; COMPUTE_PGM_RSRC2:TGID_X_EN: 1
; COMPUTE_PGM_RSRC2:TGID_Y_EN: 0
; COMPUTE_PGM_RSRC2:TGID_Z_EN: 0
; COMPUTE_PGM_RSRC2:TIDIG_COMP_CNT: 0
	.text
	.p2alignl 7, 3214868480
	.fill 96, 4, 3214868480
	.type	__hip_cuid_904e18126138839,@object ; @__hip_cuid_904e18126138839
	.section	.bss,"aw",@nobits
	.globl	__hip_cuid_904e18126138839
__hip_cuid_904e18126138839:
	.byte	0                               ; 0x0
	.size	__hip_cuid_904e18126138839, 1

	.ident	"AMD clang version 19.0.0git (https://github.com/RadeonOpenCompute/llvm-project roc-6.4.0 25133 c7fe45cf4b819c5991fe208aaa96edf142730f1d)"
	.section	".note.GNU-stack","",@progbits
	.addrsig
	.addrsig_sym __hip_cuid_904e18126138839
	.amdgpu_metadata
---
amdhsa.kernels:
  - .args:
      - .actual_access:  read_only
        .address_space:  global
        .offset:         0
        .size:           8
        .value_kind:     global_buffer
      - .offset:         8
        .size:           8
        .value_kind:     by_value
      - .actual_access:  read_only
        .address_space:  global
        .offset:         16
        .size:           8
        .value_kind:     global_buffer
      - .actual_access:  read_only
        .address_space:  global
        .offset:         24
        .size:           8
        .value_kind:     global_buffer
      - .offset:         32
        .size:           8
        .value_kind:     by_value
      - .actual_access:  read_only
        .address_space:  global
        .offset:         40
        .size:           8
        .value_kind:     global_buffer
      - .actual_access:  read_only
        .address_space:  global
        .offset:         48
        .size:           8
        .value_kind:     global_buffer
      - .offset:         56
        .size:           4
        .value_kind:     by_value
      - .actual_access:  read_only
        .address_space:  global
        .offset:         64
        .size:           8
        .value_kind:     global_buffer
      - .actual_access:  read_only
        .address_space:  global
        .offset:         72
        .size:           8
        .value_kind:     global_buffer
      - .address_space:  global
        .offset:         80
        .size:           8
        .value_kind:     global_buffer
    .group_segment_fixed_size: 0
    .kernarg_segment_align: 8
    .kernarg_segment_size: 88
    .language:       OpenCL C
    .language_version:
      - 2
      - 0
    .max_flat_workgroup_size: 175
    .name:           fft_rtc_fwd_len1750_factors_2_5_5_7_5_wgs_175_tpt_175_halfLds_dp_ip_CI_sbrr_dirReg
    .private_segment_fixed_size: 0
    .sgpr_count:     37
    .sgpr_spill_count: 0
    .symbol:         fft_rtc_fwd_len1750_factors_2_5_5_7_5_wgs_175_tpt_175_halfLds_dp_ip_CI_sbrr_dirReg.kd
    .uniform_work_group_size: 1
    .uses_dynamic_stack: false
    .vgpr_count:     141
    .vgpr_spill_count: 0
    .wavefront_size: 32
    .workgroup_processor_mode: 1
amdhsa.target:   amdgcn-amd-amdhsa--gfx1201
amdhsa.version:
  - 1
  - 2
...

	.end_amdgpu_metadata
